;; amdgpu-corpus repo=triton-lang/triton kind=triton arch=gfx1201 opt=O3 lang=triton
	.amdgcn_target "amdgcn-amd-amdhsa--gfx1201"
	.amdhsa_code_object_version 5
	.text
	.globl	fused_bias_gelu_kernel          ; -- Begin function fused_bias_gelu_kernel
	.p2align	8
	.type	fused_bias_gelu_kernel,@function
fused_bias_gelu_kernel:                 ; @fused_bias_gelu_kernel
.Lfunc_begin0:
	.cfi_sections .debug_frame
	.cfi_startproc
; %bb.0:
	.file	1 "/root/src/amdgpu-assembly/repos/triton-lang__triton-aot" "fused_gelu.py"
	.loc	1 10 46 prologue_end            ; fused_gelu.py:10:46
	s_bfe_u32 s4, ttmp8, 0x50019
	v_dual_mov_b32 v11, 0 :: v_dual_and_b32 v0, 31, v0
	s_lshl_b32 s4, s4, 5
	s_clause 0x1
	s_load_b64 s[2:3], s[0:1], 0x0
	s_load_b32 s9, s[0:1], 0x18
	.loc	1 10 20 is_stmt 0               ; fused_gelu.py:10:20
	s_lshl_b32 s5, ttmp9, 11
	.loc	1 10 46                         ; fused_gelu.py:10:46
	s_and_b32 s4, s4, 0xe0
	v_mov_b32_e32 v12, 0
	.loc	1 10 33                         ; fused_gelu.py:10:33
	v_or3_b32 v2, s4, v0, s5
	s_delay_alu instid0(VALU_DEP_1) | instskip(NEXT) | instid1(VALU_DEP_1)
	.loc	1 12 24 is_stmt 1               ; fused_gelu.py:12:24
	v_ashrrev_i32_e32 v3, 31, v2
	v_lshlrev_b64_e32 v[0:1], 1, v[2:3]
	.loc	1 11 21                         ; fused_gelu.py:11:21
	s_wait_kmcnt 0x0
	v_cmp_gt_i32_e32 vcc_lo, s9, v2
	s_delay_alu instid0(VALU_DEP_2) | instskip(SKIP_1) | instid1(VALU_DEP_3)
	.loc	1 12 24                         ; fused_gelu.py:12:24
	v_add_co_u32 v3, s2, s2, v0
	s_wait_alu depctr_va_sdst(0)
	v_add_co_ci_u32_e64 v4, null, s3, v1, s2
	.loc	1 12 16 is_stmt 0               ; fused_gelu.py:12:16
	s_and_saveexec_b32 s2, vcc_lo
	s_cbranch_execz .LBB0_2
; %bb.1:
	global_load_u16 v12, v[3:4], off
.LBB0_2:
	.loc	1 0 16                          ; fused_gelu.py:0:16
	s_wait_alu depctr_sa_sdst(0)
	s_or_b32 exec_lo, exec_lo, s2
	.loc	1 10 33 is_stmt 1               ; fused_gelu.py:10:33
	v_or_b32_e32 v17, 0x100, v2
	s_delay_alu instid0(VALU_DEP_1)
	.loc	1 11 21                         ; fused_gelu.py:11:21
	v_cmp_gt_i32_e64 s8, s9, v17
	.loc	1 12 16                         ; fused_gelu.py:12:16
	s_and_saveexec_b32 s2, s8
	s_cbranch_execz .LBB0_4
; %bb.3:
	global_load_u16 v11, v[3:4], off offset:512
.LBB0_4:
	.loc	1 0 16 is_stmt 0                ; fused_gelu.py:0:16
	s_wait_alu depctr_sa_sdst(0)
	s_or_b32 exec_lo, exec_lo, s2
	.loc	1 10 33 is_stmt 1               ; fused_gelu.py:10:33
	v_or_b32_e32 v21, 0x200, v2
	v_dual_mov_b32 v9, 0 :: v_dual_mov_b32 v10, 0
	s_delay_alu instid0(VALU_DEP_2)
	.loc	1 11 21                         ; fused_gelu.py:11:21
	v_cmp_gt_i32_e64 s7, s9, v21
	.loc	1 12 16                         ; fused_gelu.py:12:16
	s_and_saveexec_b32 s2, s7
	s_cbranch_execz .LBB0_6
; %bb.5:
	global_load_u16 v10, v[3:4], off offset:1024
.LBB0_6:
	.loc	1 0 16 is_stmt 0                ; fused_gelu.py:0:16
	s_wait_alu depctr_sa_sdst(0)
	s_or_b32 exec_lo, exec_lo, s2
	.loc	1 10 33 is_stmt 1               ; fused_gelu.py:10:33
	v_or_b32_e32 v15, 0x300, v2
	s_delay_alu instid0(VALU_DEP_1)
	.loc	1 11 21                         ; fused_gelu.py:11:21
	v_cmp_gt_i32_e64 s6, s9, v15
	.loc	1 12 16                         ; fused_gelu.py:12:16
	s_and_saveexec_b32 s2, s6
	s_cbranch_execz .LBB0_8
; %bb.7:
	global_load_u16 v9, v[3:4], off offset:1536
.LBB0_8:
	.loc	1 0 16 is_stmt 0                ; fused_gelu.py:0:16
	s_wait_alu depctr_sa_sdst(0)
	s_or_b32 exec_lo, exec_lo, s2
	.loc	1 10 33 is_stmt 1               ; fused_gelu.py:10:33
	v_or_b32_e32 v20, 0x400, v2
	v_dual_mov_b32 v7, 0 :: v_dual_mov_b32 v8, 0
	s_delay_alu instid0(VALU_DEP_2)
	.loc	1 11 21                         ; fused_gelu.py:11:21
	v_cmp_gt_i32_e64 s5, s9, v20
	.loc	1 12 16                         ; fused_gelu.py:12:16
	s_and_saveexec_b32 s2, s5
	s_cbranch_execz .LBB0_10
; %bb.9:
	global_load_u16 v8, v[3:4], off offset:2048
.LBB0_10:
	.loc	1 0 16 is_stmt 0                ; fused_gelu.py:0:16
	;; [unrolled: 29-line block ×3, first 2 shown]
	s_wait_alu depctr_sa_sdst(0)
	s_or_b32 exec_lo, exec_lo, s2
	s_clause 0x1
	s_load_b64 s[10:11], s[0:1], 0x8
	s_load_b32 s12, s[0:1], 0x1c
	.loc	1 10 33 is_stmt 1               ; fused_gelu.py:10:33
	v_or_b32_e32 v16, 0x700, v2
	s_delay_alu instid0(VALU_DEP_1)
	.loc	1 11 21                         ; fused_gelu.py:11:21
	v_cmp_gt_i32_e64 s2, s9, v16
	.loc	1 12 16                         ; fused_gelu.py:12:16
	s_and_saveexec_b32 s9, s2
	s_cbranch_execz .LBB0_16
; %bb.15:
	global_load_u16 v5, v[3:4], off offset:3584
.LBB0_16:
	.loc	1 0 16 is_stmt 0                ; fused_gelu.py:0:16
	s_wait_alu depctr_sa_sdst(0)
	s_or_b32 exec_lo, exec_lo, s9
	.loc	1 13 37 is_stmt 1               ; fused_gelu.py:13:37
	s_wait_kmcnt 0x0
	s_abs_i32 s14, s12
	v_mov_b32_e32 v13, 0
	s_cvt_f32_u32 s9, s14
	v_mov_b32_e32 v19, 0
	s_wait_alu depctr_sa_sdst(0)
	s_delay_alu instid0(SALU_CYCLE_1) | instskip(NEXT) | instid1(TRANS32_DEP_1)
	v_rcp_iflag_f32_e32 v3, s9
	v_readfirstlane_b32 s9, v3
	s_mul_f32 s9, s9, 0x4f7ffffe
	s_wait_alu depctr_sa_sdst(0)
	s_delay_alu instid0(SALU_CYCLE_2) | instskip(SKIP_2) | instid1(SALU_CYCLE_1)
	s_cvt_u32_f32 s15, s9
	s_sub_co_i32 s9, 0, s14
	s_wait_alu depctr_sa_sdst(0)
	s_mul_i32 s9, s9, s15
	s_wait_alu depctr_sa_sdst(0)
	s_mul_hi_u32 s9, s15, s9
	s_wait_alu depctr_sa_sdst(0)
	s_add_co_i32 s15, s15, s9
	.loc	1 13 16 is_stmt 0               ; fused_gelu.py:13:16
	s_and_saveexec_b32 s12, vcc_lo
	s_cbranch_execz .LBB0_18
; %bb.17:
	.loc	1 13 37                         ; fused_gelu.py:13:37
	v_sub_nc_u32_e32 v3, 0, v2
	s_delay_alu instid0(VALU_DEP_1) | instskip(SKIP_1) | instid1(VALU_DEP_2)
	v_max_i32_e32 v3, v3, v2
	v_ashrrev_i32_e32 v2, 31, v2
	v_mul_hi_u32 v4, v3, s15
	s_delay_alu instid0(VALU_DEP_1) | instskip(NEXT) | instid1(VALU_DEP_1)
	v_mul_lo_u32 v4, v4, s14
	v_sub_nc_u32_e32 v3, v3, v4
	s_delay_alu instid0(VALU_DEP_1) | instskip(SKIP_2) | instid1(VALU_DEP_1)
	v_subrev_nc_u32_e32 v4, s14, v3
	v_cmp_le_u32_e64 s9, s14, v3
	s_wait_alu depctr_va_sdst(0)
	v_cndmask_b32_e64 v3, v3, v4, s9
	s_delay_alu instid0(VALU_DEP_1) | instskip(SKIP_2) | instid1(VALU_DEP_1)
	v_subrev_nc_u32_e32 v4, s14, v3
	v_cmp_le_u32_e64 s9, s14, v3
	s_wait_alu depctr_va_sdst(0)
	v_cndmask_b32_e64 v3, v3, v4, s9
	s_delay_alu instid0(VALU_DEP_1) | instskip(NEXT) | instid1(VALU_DEP_1)
	v_xor_b32_e32 v3, v3, v2
	v_sub_nc_u32_e32 v2, v3, v2
	s_delay_alu instid0(VALU_DEP_1) | instskip(NEXT) | instid1(VALU_DEP_1)
	.loc	1 13 27                         ; fused_gelu.py:13:27
	v_ashrrev_i32_e32 v3, 31, v2
	v_lshlrev_b64_e32 v[2:3], 1, v[2:3]
	s_delay_alu instid0(VALU_DEP_1) | instskip(SKIP_1) | instid1(VALU_DEP_2)
	v_add_co_u32 v2, s9, s10, v2
	s_wait_alu depctr_va_sdst(0)
	v_add_co_ci_u32_e64 v3, null, s11, v3, s9
	.loc	1 13 16                         ; fused_gelu.py:13:16
	global_load_u16 v19, v[2:3], off
.LBB0_18:
	.loc	1 0 16                          ; fused_gelu.py:0:16
	s_or_b32 exec_lo, exec_lo, s12
	.loc	1 13 16                         ; fused_gelu.py:13:16
	s_and_saveexec_b32 s12, s8
	s_cbranch_execz .LBB0_20
; %bb.19:
	.loc	1 0 16                          ; fused_gelu.py:0:16
	v_sub_nc_u32_e32 v2, 0, v17
	s_delay_alu instid0(VALU_DEP_1) | instskip(NEXT) | instid1(VALU_DEP_1)
	v_max_i32_e32 v4, v2, v17
	v_mad_co_u64_u32 v[2:3], null, v4, s15, 0
	s_delay_alu instid0(VALU_DEP_1) | instskip(NEXT) | instid1(VALU_DEP_1)
	.loc	1 13 37                         ; fused_gelu.py:13:37
	v_mul_lo_u32 v2, v3, s14
	v_sub_nc_u32_e32 v2, v4, v2
	.loc	1 13 0                          ; fused_gelu.py:13
	v_ashrrev_i32_e32 v4, 31, v17
	s_delay_alu instid0(VALU_DEP_2) | instskip(SKIP_2) | instid1(VALU_DEP_1)
	.loc	1 13 37                         ; fused_gelu.py:13:37
	v_subrev_nc_u32_e32 v3, s14, v2
	v_cmp_le_u32_e64 s9, s14, v2
	s_wait_alu depctr_va_sdst(0)
	v_cndmask_b32_e64 v2, v2, v3, s9
	s_delay_alu instid0(VALU_DEP_1) | instskip(SKIP_2) | instid1(VALU_DEP_1)
	v_subrev_nc_u32_e32 v3, s14, v2
	v_cmp_le_u32_e64 s9, s14, v2
	s_wait_alu depctr_va_sdst(0)
	v_cndmask_b32_e64 v2, v2, v3, s9
	s_delay_alu instid0(VALU_DEP_1) | instskip(NEXT) | instid1(VALU_DEP_1)
	v_xor_b32_e32 v2, v2, v4
	v_sub_nc_u32_e32 v2, v2, v4
	s_delay_alu instid0(VALU_DEP_1) | instskip(NEXT) | instid1(VALU_DEP_1)
	.loc	1 13 27                         ; fused_gelu.py:13:27
	v_ashrrev_i32_e32 v3, 31, v2
	v_lshlrev_b64_e32 v[2:3], 1, v[2:3]
	s_delay_alu instid0(VALU_DEP_1) | instskip(SKIP_1) | instid1(VALU_DEP_2)
	v_add_co_u32 v2, s9, s10, v2
	s_wait_alu depctr_va_sdst(0)
	v_add_co_ci_u32_e64 v3, null, s11, v3, s9
	.loc	1 13 16                         ; fused_gelu.py:13:16
	global_load_u16 v13, v[2:3], off
.LBB0_20:
	.loc	1 0 16                          ; fused_gelu.py:0:16
	s_or_b32 exec_lo, exec_lo, s12
	v_dual_mov_b32 v4, 0 :: v_dual_mov_b32 v17, 0
	.loc	1 13 16                         ; fused_gelu.py:13:16
	s_and_saveexec_b32 s12, s7
	s_cbranch_execz .LBB0_22
; %bb.21:
	.loc	1 0 16                          ; fused_gelu.py:0:16
	v_sub_nc_u32_e32 v2, 0, v21
	s_delay_alu instid0(VALU_DEP_1) | instskip(NEXT) | instid1(VALU_DEP_1)
	v_max_i32_e32 v17, v2, v21
	v_mad_co_u64_u32 v[2:3], null, v17, s15, 0
	s_delay_alu instid0(VALU_DEP_1) | instskip(NEXT) | instid1(VALU_DEP_1)
	.loc	1 13 37                         ; fused_gelu.py:13:37
	v_mul_lo_u32 v2, v3, s14
	v_sub_nc_u32_e32 v2, v17, v2
	v_ashrrev_i32_e32 v17, 31, v21
	s_delay_alu instid0(VALU_DEP_2) | instskip(SKIP_2) | instid1(VALU_DEP_1)
	v_subrev_nc_u32_e32 v3, s14, v2
	v_cmp_le_u32_e64 s9, s14, v2
	s_wait_alu depctr_va_sdst(0)
	v_cndmask_b32_e64 v2, v2, v3, s9
	s_delay_alu instid0(VALU_DEP_1) | instskip(SKIP_2) | instid1(VALU_DEP_1)
	v_subrev_nc_u32_e32 v3, s14, v2
	v_cmp_le_u32_e64 s9, s14, v2
	s_wait_alu depctr_va_sdst(0)
	v_cndmask_b32_e64 v2, v2, v3, s9
	s_delay_alu instid0(VALU_DEP_1) | instskip(NEXT) | instid1(VALU_DEP_1)
	v_xor_b32_e32 v2, v2, v17
	v_sub_nc_u32_e32 v2, v2, v17
	s_delay_alu instid0(VALU_DEP_1) | instskip(NEXT) | instid1(VALU_DEP_1)
	.loc	1 13 27                         ; fused_gelu.py:13:27
	v_ashrrev_i32_e32 v3, 31, v2
	v_lshlrev_b64_e32 v[2:3], 1, v[2:3]
	s_delay_alu instid0(VALU_DEP_1) | instskip(SKIP_1) | instid1(VALU_DEP_2)
	v_add_co_u32 v2, s9, s10, v2
	s_wait_alu depctr_va_sdst(0)
	v_add_co_ci_u32_e64 v3, null, s11, v3, s9
	.loc	1 13 16                         ; fused_gelu.py:13:16
	global_load_u16 v17, v[2:3], off
.LBB0_22:
	.loc	1 0 16                          ; fused_gelu.py:0:16
	s_or_b32 exec_lo, exec_lo, s12
	.loc	1 13 16                         ; fused_gelu.py:13:16
	s_and_saveexec_b32 s12, s6
	s_cbranch_execz .LBB0_24
; %bb.23:
	.loc	1 0 16                          ; fused_gelu.py:0:16
	v_sub_nc_u32_e32 v2, 0, v15
	s_delay_alu instid0(VALU_DEP_1) | instskip(NEXT) | instid1(VALU_DEP_1)
	v_max_i32_e32 v4, v2, v15
	v_mad_co_u64_u32 v[2:3], null, v4, s15, 0
	s_delay_alu instid0(VALU_DEP_1) | instskip(NEXT) | instid1(VALU_DEP_1)
	.loc	1 13 37                         ; fused_gelu.py:13:37
	v_mul_lo_u32 v2, v3, s14
	v_sub_nc_u32_e32 v2, v4, v2
	v_ashrrev_i32_e32 v4, 31, v15
	s_delay_alu instid0(VALU_DEP_2) | instskip(SKIP_2) | instid1(VALU_DEP_1)
	v_subrev_nc_u32_e32 v3, s14, v2
	v_cmp_le_u32_e64 s9, s14, v2
	s_wait_alu depctr_va_sdst(0)
	v_cndmask_b32_e64 v2, v2, v3, s9
	s_delay_alu instid0(VALU_DEP_1) | instskip(SKIP_2) | instid1(VALU_DEP_1)
	v_subrev_nc_u32_e32 v3, s14, v2
	v_cmp_le_u32_e64 s9, s14, v2
	s_wait_alu depctr_va_sdst(0)
	v_cndmask_b32_e64 v2, v2, v3, s9
	s_delay_alu instid0(VALU_DEP_1) | instskip(NEXT) | instid1(VALU_DEP_1)
	v_xor_b32_e32 v2, v2, v4
	v_sub_nc_u32_e32 v2, v2, v4
	s_delay_alu instid0(VALU_DEP_1) | instskip(NEXT) | instid1(VALU_DEP_1)
	.loc	1 13 27                         ; fused_gelu.py:13:27
	v_ashrrev_i32_e32 v3, 31, v2
	v_lshlrev_b64_e32 v[2:3], 1, v[2:3]
	s_delay_alu instid0(VALU_DEP_1) | instskip(SKIP_1) | instid1(VALU_DEP_2)
	v_add_co_u32 v2, s9, s10, v2
	s_wait_alu depctr_va_sdst(0)
	v_add_co_ci_u32_e64 v3, null, s11, v3, s9
	.loc	1 13 16                         ; fused_gelu.py:13:16
	global_load_u16 v4, v[2:3], off
.LBB0_24:
	.loc	1 0 16                          ; fused_gelu.py:0:16
	s_or_b32 exec_lo, exec_lo, s12
	v_mov_b32_e32 v3, 0
	v_mov_b32_e32 v15, 0
	.loc	1 13 16                         ; fused_gelu.py:13:16
	s_and_saveexec_b32 s12, s5
	s_cbranch_execz .LBB0_26
; %bb.25:
	.loc	1 0 16                          ; fused_gelu.py:0:16
	v_sub_nc_u32_e32 v2, 0, v20
	s_delay_alu instid0(VALU_DEP_1) | instskip(SKIP_1) | instid1(VALU_DEP_2)
	v_max_i32_e32 v2, v2, v20
	v_ashrrev_i32_e32 v20, 31, v20
	v_mad_co_u64_u32 v[21:22], null, v2, s15, 0
	s_delay_alu instid0(VALU_DEP_1) | instskip(NEXT) | instid1(VALU_DEP_1)
	.loc	1 13 37                         ; fused_gelu.py:13:37
	v_mul_lo_u32 v15, v22, s14
	v_sub_nc_u32_e32 v2, v2, v15
	s_delay_alu instid0(VALU_DEP_1) | instskip(SKIP_2) | instid1(VALU_DEP_1)
	v_subrev_nc_u32_e32 v15, s14, v2
	v_cmp_le_u32_e64 s9, s14, v2
	s_wait_alu depctr_va_sdst(0)
	v_cndmask_b32_e64 v2, v2, v15, s9
	s_delay_alu instid0(VALU_DEP_1) | instskip(SKIP_2) | instid1(VALU_DEP_1)
	v_subrev_nc_u32_e32 v15, s14, v2
	v_cmp_le_u32_e64 s9, s14, v2
	s_wait_alu depctr_va_sdst(0)
	v_cndmask_b32_e64 v2, v2, v15, s9
	s_delay_alu instid0(VALU_DEP_1) | instskip(NEXT) | instid1(VALU_DEP_1)
	v_xor_b32_e32 v2, v2, v20
	v_sub_nc_u32_e32 v20, v2, v20
	s_delay_alu instid0(VALU_DEP_1) | instskip(NEXT) | instid1(VALU_DEP_1)
	.loc	1 13 27                         ; fused_gelu.py:13:27
	v_ashrrev_i32_e32 v21, 31, v20
	v_lshlrev_b64_e32 v[20:21], 1, v[20:21]
	s_delay_alu instid0(VALU_DEP_1) | instskip(SKIP_1) | instid1(VALU_DEP_2)
	v_add_co_u32 v20, s9, s10, v20
	s_wait_alu depctr_va_sdst(0)
	v_add_co_ci_u32_e64 v21, null, s11, v21, s9
	.loc	1 13 16                         ; fused_gelu.py:13:16
	global_load_u16 v15, v[20:21], off
.LBB0_26:
	.loc	1 0 16                          ; fused_gelu.py:0:16
	s_or_b32 exec_lo, exec_lo, s12
	.loc	1 13 16                         ; fused_gelu.py:13:16
	s_and_saveexec_b32 s12, s4
	s_cbranch_execz .LBB0_28
; %bb.27:
	.loc	1 0 16                          ; fused_gelu.py:0:16
	v_sub_nc_u32_e32 v2, 0, v14
	s_delay_alu instid0(VALU_DEP_1) | instskip(SKIP_1) | instid1(VALU_DEP_2)
	v_max_i32_e32 v20, v2, v14
	v_ashrrev_i32_e32 v14, 31, v14
	v_mad_co_u64_u32 v[2:3], null, v20, s15, 0
	s_delay_alu instid0(VALU_DEP_1) | instskip(NEXT) | instid1(VALU_DEP_1)
	.loc	1 13 37                         ; fused_gelu.py:13:37
	v_mul_lo_u32 v2, v3, s14
	v_sub_nc_u32_e32 v2, v20, v2
	s_delay_alu instid0(VALU_DEP_1) | instskip(SKIP_2) | instid1(VALU_DEP_1)
	v_subrev_nc_u32_e32 v3, s14, v2
	v_cmp_le_u32_e64 s9, s14, v2
	s_wait_alu depctr_va_sdst(0)
	v_cndmask_b32_e64 v2, v2, v3, s9
	s_delay_alu instid0(VALU_DEP_1) | instskip(SKIP_2) | instid1(VALU_DEP_1)
	v_subrev_nc_u32_e32 v3, s14, v2
	v_cmp_le_u32_e64 s9, s14, v2
	s_wait_alu depctr_va_sdst(0)
	v_cndmask_b32_e64 v2, v2, v3, s9
	s_delay_alu instid0(VALU_DEP_1) | instskip(NEXT) | instid1(VALU_DEP_1)
	v_xor_b32_e32 v2, v2, v14
	v_sub_nc_u32_e32 v2, v2, v14
	s_delay_alu instid0(VALU_DEP_1) | instskip(NEXT) | instid1(VALU_DEP_1)
	.loc	1 13 27                         ; fused_gelu.py:13:27
	v_ashrrev_i32_e32 v3, 31, v2
	v_lshlrev_b64_e32 v[2:3], 1, v[2:3]
	s_delay_alu instid0(VALU_DEP_1) | instskip(SKIP_1) | instid1(VALU_DEP_2)
	v_add_co_u32 v2, s9, s10, v2
	s_wait_alu depctr_va_sdst(0)
	v_add_co_ci_u32_e64 v3, null, s11, v3, s9
	.loc	1 13 16                         ; fused_gelu.py:13:16
	global_load_u16 v3, v[2:3], off
.LBB0_28:
	.loc	1 0 16                          ; fused_gelu.py:0:16
	s_or_b32 exec_lo, exec_lo, s12
	s_load_b64 s[12:13], s[0:1], 0x10
	v_mov_b32_e32 v2, 0
	v_mov_b32_e32 v14, 0
	.loc	1 13 16                         ; fused_gelu.py:13:16
	s_and_saveexec_b32 s1, s3
	s_cbranch_execz .LBB0_30
; %bb.29:
	.loc	1 0 16                          ; fused_gelu.py:0:16
	v_sub_nc_u32_e32 v14, 0, v18
	s_delay_alu instid0(VALU_DEP_1) | instskip(SKIP_1) | instid1(VALU_DEP_2)
	v_max_i32_e32 v14, v14, v18
	v_ashrrev_i32_e32 v18, 31, v18
	v_mad_co_u64_u32 v[20:21], null, v14, s15, 0
	s_delay_alu instid0(VALU_DEP_1) | instskip(NEXT) | instid1(VALU_DEP_1)
	.loc	1 13 37                         ; fused_gelu.py:13:37
	v_mul_lo_u32 v20, v21, s14
	v_sub_nc_u32_e32 v14, v14, v20
	s_delay_alu instid0(VALU_DEP_1) | instskip(SKIP_1) | instid1(VALU_DEP_1)
	v_subrev_nc_u32_e32 v20, s14, v14
	v_cmp_le_u32_e64 s0, s14, v14
	v_cndmask_b32_e64 v14, v14, v20, s0
	s_delay_alu instid0(VALU_DEP_1) | instskip(SKIP_2) | instid1(VALU_DEP_1)
	v_subrev_nc_u32_e32 v20, s14, v14
	v_cmp_le_u32_e64 s0, s14, v14
	s_wait_alu depctr_va_sdst(0)
	v_cndmask_b32_e64 v14, v14, v20, s0
	s_delay_alu instid0(VALU_DEP_1) | instskip(NEXT) | instid1(VALU_DEP_1)
	v_xor_b32_e32 v14, v14, v18
	v_sub_nc_u32_e32 v20, v14, v18
	s_delay_alu instid0(VALU_DEP_1) | instskip(NEXT) | instid1(VALU_DEP_1)
	.loc	1 13 27                         ; fused_gelu.py:13:27
	v_ashrrev_i32_e32 v21, 31, v20
	v_lshlrev_b64_e32 v[20:21], 1, v[20:21]
	s_delay_alu instid0(VALU_DEP_1) | instskip(SKIP_1) | instid1(VALU_DEP_2)
	v_add_co_u32 v20, s0, s10, v20
	s_wait_alu depctr_va_sdst(0)
	v_add_co_ci_u32_e64 v21, null, s11, v21, s0
	.loc	1 13 16                         ; fused_gelu.py:13:16
	global_load_u16 v14, v[20:21], off
.LBB0_30:
	.loc	1 0 16                          ; fused_gelu.py:0:16
	s_or_b32 exec_lo, exec_lo, s1
	.loc	1 13 16                         ; fused_gelu.py:13:16
	s_and_saveexec_b32 s1, s2
	s_cbranch_execz .LBB0_32
; %bb.31:
	.loc	1 0 16                          ; fused_gelu.py:0:16
	v_sub_nc_u32_e32 v2, 0, v16
	s_delay_alu instid0(VALU_DEP_1) | instskip(SKIP_1) | instid1(VALU_DEP_2)
	v_max_i32_e32 v2, v2, v16
	v_ashrrev_i32_e32 v16, 31, v16
	v_mad_co_u64_u32 v[20:21], null, v2, s15, 0
	s_delay_alu instid0(VALU_DEP_1) | instskip(NEXT) | instid1(VALU_DEP_1)
	.loc	1 13 37                         ; fused_gelu.py:13:37
	v_mul_lo_u32 v18, v21, s14
	v_sub_nc_u32_e32 v2, v2, v18
	s_delay_alu instid0(VALU_DEP_1) | instskip(SKIP_2) | instid1(VALU_DEP_1)
	v_subrev_nc_u32_e32 v18, s14, v2
	v_cmp_le_u32_e64 s0, s14, v2
	s_wait_alu depctr_va_sdst(0)
	v_cndmask_b32_e64 v2, v2, v18, s0
	s_delay_alu instid0(VALU_DEP_1) | instskip(SKIP_2) | instid1(VALU_DEP_1)
	v_subrev_nc_u32_e32 v18, s14, v2
	v_cmp_le_u32_e64 s0, s14, v2
	s_wait_alu depctr_va_sdst(0)
	v_cndmask_b32_e64 v2, v2, v18, s0
	s_delay_alu instid0(VALU_DEP_1) | instskip(NEXT) | instid1(VALU_DEP_1)
	v_xor_b32_e32 v2, v2, v16
	v_sub_nc_u32_e32 v20, v2, v16
	s_delay_alu instid0(VALU_DEP_1) | instskip(NEXT) | instid1(VALU_DEP_1)
	.loc	1 13 27                         ; fused_gelu.py:13:27
	v_ashrrev_i32_e32 v21, 31, v20
	v_lshlrev_b64_e32 v[20:21], 1, v[20:21]
	s_delay_alu instid0(VALU_DEP_1) | instskip(SKIP_1) | instid1(VALU_DEP_2)
	v_add_co_u32 v20, s0, s10, v20
	s_wait_alu depctr_va_sdst(0)
	v_add_co_ci_u32_e64 v21, null, s11, v21, s0
	.loc	1 13 16                         ; fused_gelu.py:13:16
	global_load_u16 v2, v[20:21], off
.LBB0_32:
	.loc	1 0 16                          ; fused_gelu.py:0:16
	s_wait_alu depctr_sa_sdst(0)
	s_or_b32 exec_lo, exec_lo, s1
	.loc	1 21 23 is_stmt 1               ; fused_gelu.py:21:23
	s_wait_kmcnt 0x0
	v_add_co_u32 v0, s0, s12, v0
	s_wait_alu depctr_va_sdst(0)
	v_add_co_ci_u32_e64 v1, null, s13, v1, s0
	.loc	1 21 32 is_stmt 0               ; fused_gelu.py:21:32
	s_and_saveexec_b32 s0, vcc_lo
	s_cbranch_execnz .LBB0_41
; %bb.33:
	.loc	1 0 32                          ; fused_gelu.py:0:32
	s_wait_alu depctr_sa_sdst(0)
	s_or_b32 exec_lo, exec_lo, s0
	.loc	1 21 32                         ; fused_gelu.py:21:32
	s_and_saveexec_b32 s0, s8
	s_cbranch_execnz .LBB0_42
.LBB0_34:
	.loc	1 0 32                          ; fused_gelu.py:0:32
	s_wait_alu depctr_sa_sdst(0)
	s_or_b32 exec_lo, exec_lo, s0
	.loc	1 21 32                         ; fused_gelu.py:21:32
	s_and_saveexec_b32 s0, s7
	s_cbranch_execnz .LBB0_43
.LBB0_35:
	.loc	1 0 32                          ; fused_gelu.py:0:32
	s_wait_alu depctr_sa_sdst(0)
	s_or_b32 exec_lo, exec_lo, s0
	.loc	1 21 32                         ; fused_gelu.py:21:32
	s_and_saveexec_b32 s0, s6
	s_cbranch_execnz .LBB0_44
.LBB0_36:
	.loc	1 0 32                          ; fused_gelu.py:0:32
	s_wait_alu depctr_sa_sdst(0)
	s_or_b32 exec_lo, exec_lo, s0
	.loc	1 21 32                         ; fused_gelu.py:21:32
	s_and_saveexec_b32 s0, s5
	s_cbranch_execnz .LBB0_45
.LBB0_37:
	.loc	1 0 32                          ; fused_gelu.py:0:32
	s_wait_alu depctr_sa_sdst(0)
	s_or_b32 exec_lo, exec_lo, s0
	.loc	1 21 32                         ; fused_gelu.py:21:32
	s_and_saveexec_b32 s0, s4
	s_cbranch_execnz .LBB0_46
.LBB0_38:
	.loc	1 0 32                          ; fused_gelu.py:0:32
	s_wait_alu depctr_sa_sdst(0)
	s_or_b32 exec_lo, exec_lo, s0
	.loc	1 21 32                         ; fused_gelu.py:21:32
	s_and_saveexec_b32 s0, s3
	s_cbranch_execnz .LBB0_47
.LBB0_39:
	.loc	1 0 32                          ; fused_gelu.py:0:32
	s_wait_alu depctr_sa_sdst(0)
	s_or_b32 exec_lo, exec_lo, s0
	.loc	1 21 32                         ; fused_gelu.py:21:32
	s_and_saveexec_b32 s0, s2
	s_cbranch_execnz .LBB0_48
.LBB0_40:
	.loc	1 21 4                          ; fused_gelu.py:21:4
	s_endpgm
.LBB0_41:
	.loc	1 12 58 is_stmt 1               ; fused_gelu.py:12:58
	s_wait_loadcnt 0x0
	v_cvt_f32_f16_e32 v12, v12
	.loc	1 13 70                         ; fused_gelu.py:13:70
	v_cvt_f32_f16_e32 v16, v19
	s_delay_alu instid0(VALU_DEP_1) | instskip(NEXT) | instid1(VALU_DEP_1)
	.loc	1 14 12                         ; fused_gelu.py:14:12
	v_add_f32_e32 v12, v12, v16
	.loc	1 17 32                         ; fused_gelu.py:17:32
	v_mul_f32_e32 v16, 0x3d372713, v12
	.loc	1 20 14                         ; fused_gelu.py:20:14
	v_mul_f32_e32 v18, 0.5, v12
	s_delay_alu instid0(VALU_DEP_2) | instskip(NEXT) | instid1(VALU_DEP_1)
	.loc	1 17 36                         ; fused_gelu.py:17:36
	v_mul_f32_e32 v16, v12, v16
	.loc	1 17 21 is_stmt 0               ; fused_gelu.py:17:21
	v_fmac_f32_e32 v12, v12, v16
	s_delay_alu instid0(VALU_DEP_1) | instskip(NEXT) | instid1(VALU_DEP_1)
	.loc	1 17 17                         ; fused_gelu.py:17:17
	v_mul_f32_e32 v12, 0x3f4c422a, v12
	.loc	1 18 22 is_stmt 1               ; fused_gelu.py:18:22
	v_add_f32_e32 v12, v12, v12
	s_delay_alu instid0(VALU_DEP_1) | instskip(NEXT) | instid1(VALU_DEP_1)
	.loc	1 18 16 is_stmt 0               ; fused_gelu.py:18:16
	v_mul_f32_e32 v16, 0x3fb8aa3b, v12
	v_cmp_gt_f32_e32 vcc_lo, 0xc2fc0000, v16
	v_cndmask_b32_e64 v16, 0, 0x42800000, vcc_lo
	s_delay_alu instid0(VALU_DEP_1) | instskip(NEXT) | instid1(VALU_DEP_1)
	v_fmac_f32_e32 v16, 0x3fb8aa3b, v12
	v_exp_f32_e32 v12, v16
	v_cndmask_b32_e64 v16, 0, 0xffffffc0, vcc_lo
	s_delay_alu instid0(TRANS32_DEP_1) | instid1(VALU_DEP_1)
	v_ldexp_f32 v12, v12, v16
	s_delay_alu instid0(VALU_DEP_1) | instskip(SKIP_1) | instid1(VALU_DEP_1)
	.loc	1 19 23 is_stmt 1               ; fused_gelu.py:19:23
	v_add_f32_e32 v16, -1.0, v12
	.loc	1 19 36 is_stmt 0               ; fused_gelu.py:19:36
	v_add_f32_e32 v12, 1.0, v12
	.loc	1 19 31                         ; fused_gelu.py:19:31
	v_div_scale_f32 v19, null, v12, v12, v16
	s_delay_alu instid0(VALU_DEP_1) | instskip(NEXT) | instid1(TRANS32_DEP_1)
	v_rcp_f32_e32 v20, v19
	v_fma_f32 v21, -v19, v20, 1.0
	s_delay_alu instid0(VALU_DEP_1) | instskip(SKIP_1) | instid1(VALU_DEP_1)
	v_fmac_f32_e32 v20, v21, v20
	v_div_scale_f32 v21, vcc_lo, v16, v12, v16
	v_mul_f32_e32 v22, v21, v20
	s_delay_alu instid0(VALU_DEP_1) | instskip(NEXT) | instid1(VALU_DEP_1)
	v_fma_f32 v23, -v19, v22, v21
	v_fmac_f32_e32 v22, v23, v20
	s_delay_alu instid0(VALU_DEP_1) | instskip(SKIP_1) | instid1(VALU_DEP_1)
	v_fma_f32 v19, -v19, v22, v21
	s_wait_alu depctr_va_vcc(0)
	v_div_fmas_f32 v19, v19, v20, v22
	s_delay_alu instid0(VALU_DEP_1) | instskip(NEXT) | instid1(VALU_DEP_1)
	v_div_fixup_f32 v12, v19, v12, v16
	.loc	1 20 25 is_stmt 1               ; fused_gelu.py:20:25
	v_add_f32_e32 v12, 1.0, v12
	s_delay_alu instid0(VALU_DEP_1)
	.loc	1 21 37                         ; fused_gelu.py:21:37
	v_fma_mixlo_f16 v12, v18, v12, 0
	.loc	1 21 32 is_stmt 0               ; fused_gelu.py:21:32
	global_store_b16 v[0:1], v12, off
	s_wait_alu depctr_sa_sdst(0)
	s_or_b32 exec_lo, exec_lo, s0
	s_and_saveexec_b32 s0, s8
	s_cbranch_execz .LBB0_34
.LBB0_42:
	.loc	1 12 58 is_stmt 1               ; fused_gelu.py:12:58
	s_wait_loadcnt 0x0
	v_cvt_f32_f16_e32 v11, v11
	.loc	1 13 70                         ; fused_gelu.py:13:70
	v_cvt_f32_f16_e32 v12, v13
	s_delay_alu instid0(VALU_DEP_1) | instskip(NEXT) | instid1(VALU_DEP_1)
	.loc	1 14 12                         ; fused_gelu.py:14:12
	v_add_f32_e32 v11, v11, v12
	.loc	1 17 32                         ; fused_gelu.py:17:32
	v_mul_f32_e32 v12, 0x3d372713, v11
	s_delay_alu instid0(VALU_DEP_1) | instskip(NEXT) | instid1(VALU_DEP_1)
	.loc	1 17 36 is_stmt 0               ; fused_gelu.py:17:36
	v_mul_f32_e32 v12, v11, v12
	.loc	1 17 21                         ; fused_gelu.py:17:21
	v_fma_f32 v12, v11, v12, v11
	s_delay_alu instid0(VALU_DEP_1) | instskip(NEXT) | instid1(VALU_DEP_1)
	.loc	1 17 17                         ; fused_gelu.py:17:17
	v_mul_f32_e32 v12, 0x3f4c422a, v12
	.loc	1 18 22 is_stmt 1               ; fused_gelu.py:18:22
	v_add_f32_e32 v12, v12, v12
	s_delay_alu instid0(VALU_DEP_1) | instskip(NEXT) | instid1(VALU_DEP_1)
	.loc	1 18 16 is_stmt 0               ; fused_gelu.py:18:16
	v_mul_f32_e32 v13, 0x3fb8aa3b, v12
	v_cmp_gt_f32_e32 vcc_lo, 0xc2fc0000, v13
	s_wait_alu depctr_va_vcc(0)
	v_cndmask_b32_e64 v13, 0, 0x42800000, vcc_lo
	s_delay_alu instid0(VALU_DEP_1) | instskip(NEXT) | instid1(VALU_DEP_1)
	v_fmac_f32_e32 v13, 0x3fb8aa3b, v12
	v_exp_f32_e32 v12, v13
	v_cndmask_b32_e64 v13, 0, 0xffffffc0, vcc_lo
	s_delay_alu instid0(TRANS32_DEP_1) | instid1(VALU_DEP_1)
	v_ldexp_f32 v12, v12, v13
	s_delay_alu instid0(VALU_DEP_1) | instskip(SKIP_1) | instid1(VALU_DEP_1)
	.loc	1 19 23 is_stmt 1               ; fused_gelu.py:19:23
	v_add_f32_e32 v13, -1.0, v12
	.loc	1 19 36 is_stmt 0               ; fused_gelu.py:19:36
	v_add_f32_e32 v12, 1.0, v12
	.loc	1 19 31                         ; fused_gelu.py:19:31
	v_div_scale_f32 v16, null, v12, v12, v13
	s_delay_alu instid0(VALU_DEP_1) | instskip(NEXT) | instid1(TRANS32_DEP_1)
	v_rcp_f32_e32 v18, v16
	v_fma_f32 v19, -v16, v18, 1.0
	s_delay_alu instid0(VALU_DEP_1) | instskip(SKIP_1) | instid1(VALU_DEP_1)
	v_fmac_f32_e32 v18, v19, v18
	v_div_scale_f32 v19, vcc_lo, v13, v12, v13
	v_mul_f32_e32 v20, v19, v18
	s_delay_alu instid0(VALU_DEP_1) | instskip(NEXT) | instid1(VALU_DEP_1)
	v_fma_f32 v21, -v16, v20, v19
	v_dual_fmac_f32 v20, v21, v18 :: v_dual_mul_f32 v11, 0.5, v11
	s_delay_alu instid0(VALU_DEP_1) | instskip(SKIP_1) | instid1(VALU_DEP_1)
	v_fma_f32 v16, -v16, v20, v19
	s_wait_alu depctr_va_vcc(0)
	v_div_fmas_f32 v16, v16, v18, v20
	s_delay_alu instid0(VALU_DEP_1) | instskip(NEXT) | instid1(VALU_DEP_1)
	v_div_fixup_f32 v12, v16, v12, v13
	.loc	1 20 25 is_stmt 1               ; fused_gelu.py:20:25
	v_add_f32_e32 v12, 1.0, v12
	s_delay_alu instid0(VALU_DEP_1)
	.loc	1 21 37                         ; fused_gelu.py:21:37
	v_fma_mixlo_f16 v11, v11, v12, 0
	.loc	1 21 32 is_stmt 0               ; fused_gelu.py:21:32
	global_store_b16 v[0:1], v11, off offset:512
	s_wait_alu depctr_sa_sdst(0)
	s_or_b32 exec_lo, exec_lo, s0
	s_and_saveexec_b32 s0, s7
	s_cbranch_execz .LBB0_35
.LBB0_43:
	.loc	1 12 58 is_stmt 1               ; fused_gelu.py:12:58
	s_wait_loadcnt 0x0
	v_cvt_f32_f16_e32 v10, v10
	.loc	1 13 70                         ; fused_gelu.py:13:70
	v_cvt_f32_f16_e32 v11, v17
	s_delay_alu instid0(VALU_DEP_1) | instskip(NEXT) | instid1(VALU_DEP_1)
	.loc	1 14 12                         ; fused_gelu.py:14:12
	v_add_f32_e32 v10, v10, v11
	.loc	1 17 32                         ; fused_gelu.py:17:32
	v_mul_f32_e32 v11, 0x3d372713, v10
	s_delay_alu instid0(VALU_DEP_1) | instskip(NEXT) | instid1(VALU_DEP_1)
	.loc	1 17 36 is_stmt 0               ; fused_gelu.py:17:36
	v_mul_f32_e32 v11, v10, v11
	.loc	1 17 21                         ; fused_gelu.py:17:21
	v_fma_f32 v11, v10, v11, v10
	s_delay_alu instid0(VALU_DEP_1) | instskip(NEXT) | instid1(VALU_DEP_1)
	.loc	1 20 14 is_stmt 1               ; fused_gelu.py:20:14
	v_dual_mul_f32 v10, 0.5, v10 :: v_dual_mul_f32 v11, 0x3f4c422a, v11
	.loc	1 18 22                         ; fused_gelu.py:18:22
	v_add_f32_e32 v11, v11, v11
	s_delay_alu instid0(VALU_DEP_1) | instskip(NEXT) | instid1(VALU_DEP_1)
	.loc	1 18 16 is_stmt 0               ; fused_gelu.py:18:16
	v_mul_f32_e32 v12, 0x3fb8aa3b, v11
	v_cmp_gt_f32_e32 vcc_lo, 0xc2fc0000, v12
	s_wait_alu depctr_va_vcc(0)
	v_cndmask_b32_e64 v12, 0, 0x42800000, vcc_lo
	s_delay_alu instid0(VALU_DEP_1) | instskip(NEXT) | instid1(VALU_DEP_1)
	v_fmac_f32_e32 v12, 0x3fb8aa3b, v11
	v_exp_f32_e32 v11, v12
	v_cndmask_b32_e64 v12, 0, 0xffffffc0, vcc_lo
	s_delay_alu instid0(TRANS32_DEP_1) | instid1(VALU_DEP_1)
	v_ldexp_f32 v11, v11, v12
	s_delay_alu instid0(VALU_DEP_1) | instskip(SKIP_1) | instid1(VALU_DEP_1)
	.loc	1 19 23 is_stmt 1               ; fused_gelu.py:19:23
	v_add_f32_e32 v12, -1.0, v11
	.loc	1 19 36 is_stmt 0               ; fused_gelu.py:19:36
	v_add_f32_e32 v11, 1.0, v11
	.loc	1 19 31                         ; fused_gelu.py:19:31
	v_div_scale_f32 v13, null, v11, v11, v12
	s_delay_alu instid0(VALU_DEP_1) | instskip(NEXT) | instid1(TRANS32_DEP_1)
	v_rcp_f32_e32 v16, v13
	v_fma_f32 v17, -v13, v16, 1.0
	s_delay_alu instid0(VALU_DEP_1) | instskip(SKIP_1) | instid1(VALU_DEP_1)
	v_fmac_f32_e32 v16, v17, v16
	v_div_scale_f32 v17, vcc_lo, v12, v11, v12
	v_mul_f32_e32 v18, v17, v16
	s_delay_alu instid0(VALU_DEP_1) | instskip(NEXT) | instid1(VALU_DEP_1)
	v_fma_f32 v19, -v13, v18, v17
	v_fmac_f32_e32 v18, v19, v16
	s_delay_alu instid0(VALU_DEP_1) | instskip(SKIP_1) | instid1(VALU_DEP_1)
	v_fma_f32 v13, -v13, v18, v17
	s_wait_alu depctr_va_vcc(0)
	v_div_fmas_f32 v13, v13, v16, v18
	s_delay_alu instid0(VALU_DEP_1) | instskip(NEXT) | instid1(VALU_DEP_1)
	v_div_fixup_f32 v11, v13, v11, v12
	.loc	1 20 25 is_stmt 1               ; fused_gelu.py:20:25
	v_add_f32_e32 v11, 1.0, v11
	s_delay_alu instid0(VALU_DEP_1)
	.loc	1 21 37                         ; fused_gelu.py:21:37
	v_fma_mixlo_f16 v10, v10, v11, 0
	.loc	1 21 32 is_stmt 0               ; fused_gelu.py:21:32
	global_store_b16 v[0:1], v10, off offset:1024
	s_wait_alu depctr_sa_sdst(0)
	s_or_b32 exec_lo, exec_lo, s0
	s_and_saveexec_b32 s0, s6
	s_cbranch_execz .LBB0_36
.LBB0_44:
	.loc	1 12 58 is_stmt 1               ; fused_gelu.py:12:58
	s_wait_loadcnt 0x0
	v_cvt_f32_f16_e32 v9, v9
	.loc	1 13 70                         ; fused_gelu.py:13:70
	v_cvt_f32_f16_e32 v4, v4
	s_delay_alu instid0(VALU_DEP_1) | instskip(NEXT) | instid1(VALU_DEP_1)
	.loc	1 14 12                         ; fused_gelu.py:14:12
	v_add_f32_e32 v4, v9, v4
	.loc	1 17 32                         ; fused_gelu.py:17:32
	v_mul_f32_e32 v9, 0x3d372713, v4
	s_delay_alu instid0(VALU_DEP_1) | instskip(NEXT) | instid1(VALU_DEP_1)
	.loc	1 17 36 is_stmt 0               ; fused_gelu.py:17:36
	v_mul_f32_e32 v9, v4, v9
	.loc	1 17 21                         ; fused_gelu.py:17:21
	v_fma_f32 v9, v4, v9, v4
	s_delay_alu instid0(VALU_DEP_1) | instskip(NEXT) | instid1(VALU_DEP_1)
	.loc	1 17 17                         ; fused_gelu.py:17:17
	v_dual_mul_f32 v9, 0x3f4c422a, v9 :: v_dual_mul_f32 v4, 0.5, v4
	.loc	1 18 22 is_stmt 1               ; fused_gelu.py:18:22
	v_add_f32_e32 v9, v9, v9
	s_delay_alu instid0(VALU_DEP_1) | instskip(NEXT) | instid1(VALU_DEP_1)
	.loc	1 18 16 is_stmt 0               ; fused_gelu.py:18:16
	v_mul_f32_e32 v10, 0x3fb8aa3b, v9
	v_cmp_gt_f32_e32 vcc_lo, 0xc2fc0000, v10
	s_wait_alu depctr_va_vcc(0)
	v_cndmask_b32_e64 v10, 0, 0x42800000, vcc_lo
	s_delay_alu instid0(VALU_DEP_1) | instskip(NEXT) | instid1(VALU_DEP_1)
	v_fmac_f32_e32 v10, 0x3fb8aa3b, v9
	v_exp_f32_e32 v9, v10
	v_cndmask_b32_e64 v10, 0, 0xffffffc0, vcc_lo
	s_delay_alu instid0(TRANS32_DEP_1) | instid1(VALU_DEP_1)
	v_ldexp_f32 v9, v9, v10
	s_delay_alu instid0(VALU_DEP_1) | instskip(SKIP_1) | instid1(VALU_DEP_1)
	.loc	1 19 23 is_stmt 1               ; fused_gelu.py:19:23
	v_add_f32_e32 v10, -1.0, v9
	.loc	1 19 36 is_stmt 0               ; fused_gelu.py:19:36
	v_add_f32_e32 v9, 1.0, v9
	.loc	1 19 31                         ; fused_gelu.py:19:31
	v_div_scale_f32 v11, null, v9, v9, v10
	s_delay_alu instid0(VALU_DEP_1) | instskip(NEXT) | instid1(TRANS32_DEP_1)
	v_rcp_f32_e32 v12, v11
	v_fma_f32 v13, -v11, v12, 1.0
	s_delay_alu instid0(VALU_DEP_1) | instskip(SKIP_1) | instid1(VALU_DEP_1)
	v_fmac_f32_e32 v12, v13, v12
	v_div_scale_f32 v13, vcc_lo, v10, v9, v10
	v_mul_f32_e32 v16, v13, v12
	s_delay_alu instid0(VALU_DEP_1) | instskip(NEXT) | instid1(VALU_DEP_1)
	v_fma_f32 v17, -v11, v16, v13
	v_fmac_f32_e32 v16, v17, v12
	s_delay_alu instid0(VALU_DEP_1) | instskip(SKIP_1) | instid1(VALU_DEP_1)
	v_fma_f32 v11, -v11, v16, v13
	s_wait_alu depctr_va_vcc(0)
	v_div_fmas_f32 v11, v11, v12, v16
	s_delay_alu instid0(VALU_DEP_1) | instskip(NEXT) | instid1(VALU_DEP_1)
	v_div_fixup_f32 v9, v11, v9, v10
	.loc	1 20 25 is_stmt 1               ; fused_gelu.py:20:25
	v_add_f32_e32 v9, 1.0, v9
	s_delay_alu instid0(VALU_DEP_1)
	.loc	1 21 37                         ; fused_gelu.py:21:37
	v_fma_mixlo_f16 v4, v4, v9, 0
	.loc	1 21 32 is_stmt 0               ; fused_gelu.py:21:32
	global_store_b16 v[0:1], v4, off offset:1536
	s_wait_alu depctr_sa_sdst(0)
	s_or_b32 exec_lo, exec_lo, s0
	s_and_saveexec_b32 s0, s5
	s_cbranch_execz .LBB0_37
.LBB0_45:
	.loc	1 12 58 is_stmt 1               ; fused_gelu.py:12:58
	s_wait_loadcnt 0x0
	v_cvt_f32_f16_e32 v4, v8
	.loc	1 13 70                         ; fused_gelu.py:13:70
	v_cvt_f32_f16_e32 v8, v15
	s_delay_alu instid0(VALU_DEP_1) | instskip(NEXT) | instid1(VALU_DEP_1)
	.loc	1 14 12                         ; fused_gelu.py:14:12
	v_add_f32_e32 v4, v4, v8
	.loc	1 17 32                         ; fused_gelu.py:17:32
	v_mul_f32_e32 v8, 0x3d372713, v4
	s_delay_alu instid0(VALU_DEP_1) | instskip(NEXT) | instid1(VALU_DEP_1)
	.loc	1 17 36 is_stmt 0               ; fused_gelu.py:17:36
	v_mul_f32_e32 v8, v4, v8
	.loc	1 17 21                         ; fused_gelu.py:17:21
	v_fma_f32 v8, v4, v8, v4
	s_delay_alu instid0(VALU_DEP_1) | instskip(NEXT) | instid1(VALU_DEP_1)
	.loc	1 17 17                         ; fused_gelu.py:17:17
	v_mul_f32_e32 v8, 0x3f4c422a, v8
	.loc	1 18 22 is_stmt 1               ; fused_gelu.py:18:22
	v_add_f32_e32 v8, v8, v8
	s_delay_alu instid0(VALU_DEP_1) | instskip(NEXT) | instid1(VALU_DEP_1)
	.loc	1 18 16 is_stmt 0               ; fused_gelu.py:18:16
	v_mul_f32_e32 v9, 0x3fb8aa3b, v8
	v_cmp_gt_f32_e32 vcc_lo, 0xc2fc0000, v9
	s_wait_alu depctr_va_vcc(0)
	v_cndmask_b32_e64 v9, 0, 0x42800000, vcc_lo
	s_delay_alu instid0(VALU_DEP_1) | instskip(NEXT) | instid1(VALU_DEP_1)
	v_fmac_f32_e32 v9, 0x3fb8aa3b, v8
	v_exp_f32_e32 v8, v9
	v_cndmask_b32_e64 v9, 0, 0xffffffc0, vcc_lo
	s_delay_alu instid0(TRANS32_DEP_1) | instid1(VALU_DEP_1)
	v_ldexp_f32 v8, v8, v9
	s_delay_alu instid0(VALU_DEP_1) | instskip(SKIP_1) | instid1(VALU_DEP_1)
	.loc	1 19 23 is_stmt 1               ; fused_gelu.py:19:23
	v_add_f32_e32 v9, -1.0, v8
	.loc	1 19 36 is_stmt 0               ; fused_gelu.py:19:36
	v_add_f32_e32 v8, 1.0, v8
	.loc	1 19 31                         ; fused_gelu.py:19:31
	v_div_scale_f32 v10, null, v8, v8, v9
	s_delay_alu instid0(VALU_DEP_1) | instskip(NEXT) | instid1(TRANS32_DEP_1)
	v_rcp_f32_e32 v11, v10
	v_fma_f32 v12, -v10, v11, 1.0
	s_delay_alu instid0(VALU_DEP_1) | instskip(SKIP_1) | instid1(VALU_DEP_1)
	v_fmac_f32_e32 v11, v12, v11
	v_div_scale_f32 v12, vcc_lo, v9, v8, v9
	v_mul_f32_e32 v13, v12, v11
	s_delay_alu instid0(VALU_DEP_1) | instskip(NEXT) | instid1(VALU_DEP_1)
	v_fma_f32 v15, -v10, v13, v12
	v_dual_fmac_f32 v13, v15, v11 :: v_dual_mul_f32 v4, 0.5, v4
	s_delay_alu instid0(VALU_DEP_1) | instskip(SKIP_1) | instid1(VALU_DEP_1)
	v_fma_f32 v10, -v10, v13, v12
	s_wait_alu depctr_va_vcc(0)
	v_div_fmas_f32 v10, v10, v11, v13
	s_delay_alu instid0(VALU_DEP_1) | instskip(NEXT) | instid1(VALU_DEP_1)
	v_div_fixup_f32 v8, v10, v8, v9
	.loc	1 20 25 is_stmt 1               ; fused_gelu.py:20:25
	v_add_f32_e32 v8, 1.0, v8
	s_delay_alu instid0(VALU_DEP_1)
	.loc	1 21 37                         ; fused_gelu.py:21:37
	v_fma_mixlo_f16 v4, v4, v8, 0
	.loc	1 21 32 is_stmt 0               ; fused_gelu.py:21:32
	global_store_b16 v[0:1], v4, off offset:2048
	s_wait_alu depctr_sa_sdst(0)
	s_or_b32 exec_lo, exec_lo, s0
	s_and_saveexec_b32 s0, s4
	s_cbranch_execz .LBB0_38
.LBB0_46:
	.loc	1 12 58 is_stmt 1               ; fused_gelu.py:12:58
	s_wait_loadcnt 0x0
	v_cvt_f32_f16_e32 v4, v7
	.loc	1 13 70                         ; fused_gelu.py:13:70
	v_cvt_f32_f16_e32 v3, v3
	s_delay_alu instid0(VALU_DEP_1) | instskip(NEXT) | instid1(VALU_DEP_1)
	.loc	1 14 12                         ; fused_gelu.py:14:12
	v_add_f32_e32 v3, v4, v3
	.loc	1 17 32                         ; fused_gelu.py:17:32
	v_mul_f32_e32 v4, 0x3d372713, v3
	s_delay_alu instid0(VALU_DEP_1) | instskip(NEXT) | instid1(VALU_DEP_1)
	.loc	1 17 36 is_stmt 0               ; fused_gelu.py:17:36
	v_mul_f32_e32 v4, v3, v4
	.loc	1 17 21                         ; fused_gelu.py:17:21
	v_fma_f32 v4, v3, v4, v3
	s_delay_alu instid0(VALU_DEP_1) | instskip(NEXT) | instid1(VALU_DEP_1)
	.loc	1 17 17                         ; fused_gelu.py:17:17
	v_dual_mul_f32 v4, 0x3f4c422a, v4 :: v_dual_mul_f32 v3, 0.5, v3
	.loc	1 18 22 is_stmt 1               ; fused_gelu.py:18:22
	v_add_f32_e32 v4, v4, v4
	s_delay_alu instid0(VALU_DEP_1) | instskip(NEXT) | instid1(VALU_DEP_1)
	.loc	1 18 16 is_stmt 0               ; fused_gelu.py:18:16
	v_mul_f32_e32 v7, 0x3fb8aa3b, v4
	v_cmp_gt_f32_e32 vcc_lo, 0xc2fc0000, v7
	s_wait_alu depctr_va_vcc(0)
	v_cndmask_b32_e64 v7, 0, 0x42800000, vcc_lo
	s_delay_alu instid0(VALU_DEP_1) | instskip(NEXT) | instid1(VALU_DEP_1)
	v_fmac_f32_e32 v7, 0x3fb8aa3b, v4
	v_exp_f32_e32 v4, v7
	v_cndmask_b32_e64 v7, 0, 0xffffffc0, vcc_lo
	s_delay_alu instid0(TRANS32_DEP_1) | instid1(VALU_DEP_1)
	v_ldexp_f32 v4, v4, v7
	s_delay_alu instid0(VALU_DEP_1) | instskip(SKIP_1) | instid1(VALU_DEP_1)
	.loc	1 19 23 is_stmt 1               ; fused_gelu.py:19:23
	v_add_f32_e32 v7, -1.0, v4
	.loc	1 19 36 is_stmt 0               ; fused_gelu.py:19:36
	v_add_f32_e32 v4, 1.0, v4
	.loc	1 19 31                         ; fused_gelu.py:19:31
	v_div_scale_f32 v8, null, v4, v4, v7
	s_delay_alu instid0(VALU_DEP_1) | instskip(NEXT) | instid1(TRANS32_DEP_1)
	v_rcp_f32_e32 v9, v8
	v_fma_f32 v10, -v8, v9, 1.0
	s_delay_alu instid0(VALU_DEP_1) | instskip(SKIP_1) | instid1(VALU_DEP_1)
	v_fmac_f32_e32 v9, v10, v9
	v_div_scale_f32 v10, vcc_lo, v7, v4, v7
	v_mul_f32_e32 v11, v10, v9
	s_delay_alu instid0(VALU_DEP_1) | instskip(NEXT) | instid1(VALU_DEP_1)
	v_fma_f32 v12, -v8, v11, v10
	v_fmac_f32_e32 v11, v12, v9
	s_delay_alu instid0(VALU_DEP_1) | instskip(SKIP_1) | instid1(VALU_DEP_1)
	v_fma_f32 v8, -v8, v11, v10
	s_wait_alu depctr_va_vcc(0)
	v_div_fmas_f32 v8, v8, v9, v11
	s_delay_alu instid0(VALU_DEP_1) | instskip(NEXT) | instid1(VALU_DEP_1)
	v_div_fixup_f32 v4, v8, v4, v7
	.loc	1 20 25 is_stmt 1               ; fused_gelu.py:20:25
	v_add_f32_e32 v4, 1.0, v4
	s_delay_alu instid0(VALU_DEP_1)
	.loc	1 21 37                         ; fused_gelu.py:21:37
	v_fma_mixlo_f16 v3, v3, v4, 0
	.loc	1 21 32 is_stmt 0               ; fused_gelu.py:21:32
	global_store_b16 v[0:1], v3, off offset:2560
	s_wait_alu depctr_sa_sdst(0)
	s_or_b32 exec_lo, exec_lo, s0
	s_and_saveexec_b32 s0, s3
	s_cbranch_execz .LBB0_39
.LBB0_47:
	.loc	1 12 58 is_stmt 1               ; fused_gelu.py:12:58
	s_wait_loadcnt 0x0
	v_cvt_f32_f16_e32 v3, v6
	.loc	1 13 70                         ; fused_gelu.py:13:70
	v_cvt_f32_f16_e32 v4, v14
	s_delay_alu instid0(VALU_DEP_1) | instskip(NEXT) | instid1(VALU_DEP_1)
	.loc	1 14 12                         ; fused_gelu.py:14:12
	v_add_f32_e32 v3, v3, v4
	.loc	1 17 32                         ; fused_gelu.py:17:32
	v_mul_f32_e32 v4, 0x3d372713, v3
	s_delay_alu instid0(VALU_DEP_1) | instskip(NEXT) | instid1(VALU_DEP_1)
	.loc	1 17 36 is_stmt 0               ; fused_gelu.py:17:36
	v_mul_f32_e32 v4, v3, v4
	.loc	1 17 21                         ; fused_gelu.py:17:21
	v_fma_f32 v4, v3, v4, v3
	s_delay_alu instid0(VALU_DEP_1) | instskip(NEXT) | instid1(VALU_DEP_1)
	.loc	1 20 14 is_stmt 1               ; fused_gelu.py:20:14
	v_dual_mul_f32 v3, 0.5, v3 :: v_dual_mul_f32 v4, 0x3f4c422a, v4
	.loc	1 18 22                         ; fused_gelu.py:18:22
	v_add_f32_e32 v4, v4, v4
	s_delay_alu instid0(VALU_DEP_1) | instskip(NEXT) | instid1(VALU_DEP_1)
	.loc	1 18 16 is_stmt 0               ; fused_gelu.py:18:16
	v_mul_f32_e32 v6, 0x3fb8aa3b, v4
	v_cmp_gt_f32_e32 vcc_lo, 0xc2fc0000, v6
	s_wait_alu depctr_va_vcc(0)
	v_cndmask_b32_e64 v6, 0, 0x42800000, vcc_lo
	s_delay_alu instid0(VALU_DEP_1) | instskip(NEXT) | instid1(VALU_DEP_1)
	v_fmac_f32_e32 v6, 0x3fb8aa3b, v4
	v_exp_f32_e32 v4, v6
	v_cndmask_b32_e64 v6, 0, 0xffffffc0, vcc_lo
	s_delay_alu instid0(TRANS32_DEP_1) | instid1(VALU_DEP_1)
	v_ldexp_f32 v4, v4, v6
	s_delay_alu instid0(VALU_DEP_1) | instskip(SKIP_1) | instid1(VALU_DEP_1)
	.loc	1 19 23 is_stmt 1               ; fused_gelu.py:19:23
	v_add_f32_e32 v6, -1.0, v4
	.loc	1 19 36 is_stmt 0               ; fused_gelu.py:19:36
	v_add_f32_e32 v4, 1.0, v4
	.loc	1 19 31                         ; fused_gelu.py:19:31
	v_div_scale_f32 v7, null, v4, v4, v6
	s_delay_alu instid0(VALU_DEP_1) | instskip(NEXT) | instid1(TRANS32_DEP_1)
	v_rcp_f32_e32 v8, v7
	v_fma_f32 v9, -v7, v8, 1.0
	s_delay_alu instid0(VALU_DEP_1) | instskip(SKIP_1) | instid1(VALU_DEP_1)
	v_fmac_f32_e32 v8, v9, v8
	v_div_scale_f32 v9, vcc_lo, v6, v4, v6
	v_mul_f32_e32 v10, v9, v8
	s_delay_alu instid0(VALU_DEP_1) | instskip(NEXT) | instid1(VALU_DEP_1)
	v_fma_f32 v11, -v7, v10, v9
	v_fmac_f32_e32 v10, v11, v8
	s_delay_alu instid0(VALU_DEP_1) | instskip(SKIP_1) | instid1(VALU_DEP_1)
	v_fma_f32 v7, -v7, v10, v9
	s_wait_alu depctr_va_vcc(0)
	v_div_fmas_f32 v7, v7, v8, v10
	s_delay_alu instid0(VALU_DEP_1) | instskip(NEXT) | instid1(VALU_DEP_1)
	v_div_fixup_f32 v4, v7, v4, v6
	.loc	1 20 25 is_stmt 1               ; fused_gelu.py:20:25
	v_add_f32_e32 v4, 1.0, v4
	s_delay_alu instid0(VALU_DEP_1)
	.loc	1 21 37                         ; fused_gelu.py:21:37
	v_fma_mixlo_f16 v3, v3, v4, 0
	.loc	1 21 32 is_stmt 0               ; fused_gelu.py:21:32
	global_store_b16 v[0:1], v3, off offset:3072
	s_wait_alu depctr_sa_sdst(0)
	s_or_b32 exec_lo, exec_lo, s0
	s_and_saveexec_b32 s0, s2
	s_cbranch_execz .LBB0_40
.LBB0_48:
	.loc	1 12 58 is_stmt 1               ; fused_gelu.py:12:58
	s_wait_loadcnt 0x0
	v_cvt_f32_f16_e32 v3, v5
	.loc	1 13 70                         ; fused_gelu.py:13:70
	v_cvt_f32_f16_e32 v2, v2
	s_delay_alu instid0(VALU_DEP_1) | instskip(NEXT) | instid1(VALU_DEP_1)
	.loc	1 14 12                         ; fused_gelu.py:14:12
	v_add_f32_e32 v2, v3, v2
	.loc	1 17 32                         ; fused_gelu.py:17:32
	v_mul_f32_e32 v3, 0x3d372713, v2
	s_delay_alu instid0(VALU_DEP_1) | instskip(NEXT) | instid1(VALU_DEP_1)
	.loc	1 17 36 is_stmt 0               ; fused_gelu.py:17:36
	v_mul_f32_e32 v3, v2, v3
	.loc	1 17 21                         ; fused_gelu.py:17:21
	v_fma_f32 v3, v2, v3, v2
	s_delay_alu instid0(VALU_DEP_1) | instskip(NEXT) | instid1(VALU_DEP_1)
	.loc	1 17 17                         ; fused_gelu.py:17:17
	v_mul_f32_e32 v3, 0x3f4c422a, v3
	.loc	1 18 22 is_stmt 1               ; fused_gelu.py:18:22
	v_add_f32_e32 v3, v3, v3
	s_delay_alu instid0(VALU_DEP_1) | instskip(NEXT) | instid1(VALU_DEP_1)
	.loc	1 18 16 is_stmt 0               ; fused_gelu.py:18:16
	v_mul_f32_e32 v4, 0x3fb8aa3b, v3
	v_cmp_gt_f32_e32 vcc_lo, 0xc2fc0000, v4
	s_wait_alu depctr_va_vcc(0)
	v_cndmask_b32_e64 v4, 0, 0x42800000, vcc_lo
	s_delay_alu instid0(VALU_DEP_1) | instskip(NEXT) | instid1(VALU_DEP_1)
	v_fmac_f32_e32 v4, 0x3fb8aa3b, v3
	v_exp_f32_e32 v3, v4
	v_cndmask_b32_e64 v4, 0, 0xffffffc0, vcc_lo
	s_delay_alu instid0(TRANS32_DEP_1) | instid1(VALU_DEP_1)
	v_ldexp_f32 v3, v3, v4
	s_delay_alu instid0(VALU_DEP_1) | instskip(SKIP_1) | instid1(VALU_DEP_1)
	.loc	1 19 23 is_stmt 1               ; fused_gelu.py:19:23
	v_add_f32_e32 v4, -1.0, v3
	.loc	1 19 36 is_stmt 0               ; fused_gelu.py:19:36
	v_add_f32_e32 v3, 1.0, v3
	.loc	1 19 31                         ; fused_gelu.py:19:31
	v_div_scale_f32 v5, null, v3, v3, v4
	s_delay_alu instid0(VALU_DEP_1) | instskip(NEXT) | instid1(TRANS32_DEP_1)
	v_rcp_f32_e32 v6, v5
	v_fma_f32 v7, -v5, v6, 1.0
	s_delay_alu instid0(VALU_DEP_1) | instskip(SKIP_1) | instid1(VALU_DEP_1)
	v_fmac_f32_e32 v6, v7, v6
	v_div_scale_f32 v7, vcc_lo, v4, v3, v4
	v_mul_f32_e32 v8, v7, v6
	s_delay_alu instid0(VALU_DEP_1) | instskip(NEXT) | instid1(VALU_DEP_1)
	v_fma_f32 v9, -v5, v8, v7
	v_fmac_f32_e32 v8, v9, v6
	s_delay_alu instid0(VALU_DEP_1) | instskip(SKIP_1) | instid1(VALU_DEP_1)
	v_fma_f32 v5, -v5, v8, v7
	s_wait_alu depctr_va_vcc(0)
	v_div_fmas_f32 v5, v5, v6, v8
	s_delay_alu instid0(VALU_DEP_1) | instskip(NEXT) | instid1(VALU_DEP_1)
	v_div_fixup_f32 v3, v5, v3, v4
	.loc	1 20 14 is_stmt 1               ; fused_gelu.py:20:14
	v_dual_mul_f32 v2, 0.5, v2 :: v_dual_add_f32 v3, 1.0, v3
	s_delay_alu instid0(VALU_DEP_1)
	.loc	1 21 37                         ; fused_gelu.py:21:37
	v_fma_mixlo_f16 v2, v2, v3, 0
	.loc	1 21 32 is_stmt 0               ; fused_gelu.py:21:32
	global_store_b16 v[0:1], v2, off offset:3584
	.loc	1 21 4                          ; fused_gelu.py:21:4
	s_endpgm
.Ltmp0:
	.section	.rodata,"a",@progbits
	.p2align	6, 0x0
	.amdhsa_kernel fused_bias_gelu_kernel
		.amdhsa_group_segment_fixed_size 0
		.amdhsa_private_segment_fixed_size 0
		.amdhsa_kernarg_size 48
		.amdhsa_user_sgpr_count 2
		.amdhsa_user_sgpr_dispatch_ptr 0
		.amdhsa_user_sgpr_queue_ptr 0
		.amdhsa_user_sgpr_kernarg_segment_ptr 1
		.amdhsa_user_sgpr_dispatch_id 0
		.amdhsa_user_sgpr_private_segment_size 0
		.amdhsa_wavefront_size32 1
		.amdhsa_uses_dynamic_stack 0
		.amdhsa_enable_private_segment 0
		.amdhsa_system_sgpr_workgroup_id_x 1
		.amdhsa_system_sgpr_workgroup_id_y 1
		.amdhsa_system_sgpr_workgroup_id_z 1
		.amdhsa_system_sgpr_workgroup_info 0
		.amdhsa_system_vgpr_workitem_id 0
		.amdhsa_next_free_vgpr 24
		.amdhsa_next_free_sgpr 16
		.amdhsa_reserve_vcc 1
		.amdhsa_float_round_mode_32 0
		.amdhsa_float_round_mode_16_64 0
		.amdhsa_float_denorm_mode_32 3
		.amdhsa_float_denorm_mode_16_64 3
		.amdhsa_fp16_overflow 0
		.amdhsa_workgroup_processor_mode 1
		.amdhsa_memory_ordered 1
		.amdhsa_forward_progress 1
		.amdhsa_inst_pref_size 35
		.amdhsa_round_robin_scheduling 0
		.amdhsa_exception_fp_ieee_invalid_op 0
		.amdhsa_exception_fp_denorm_src 0
		.amdhsa_exception_fp_ieee_div_zero 0
		.amdhsa_exception_fp_ieee_overflow 0
		.amdhsa_exception_fp_ieee_underflow 0
		.amdhsa_exception_fp_ieee_inexact 0
		.amdhsa_exception_int_div_zero 0
	.end_amdhsa_kernel
	.text
.Lfunc_end0:
	.size	fused_bias_gelu_kernel, .Lfunc_end0-fused_bias_gelu_kernel
	.cfi_endproc
                                        ; -- End function
	.set fused_bias_gelu_kernel.num_vgpr, 24
	.set fused_bias_gelu_kernel.num_agpr, 0
	.set fused_bias_gelu_kernel.numbered_sgpr, 16
	.set fused_bias_gelu_kernel.num_named_barrier, 0
	.set fused_bias_gelu_kernel.private_seg_size, 0
	.set fused_bias_gelu_kernel.uses_vcc, 1
	.set fused_bias_gelu_kernel.uses_flat_scratch, 0
	.set fused_bias_gelu_kernel.has_dyn_sized_stack, 0
	.set fused_bias_gelu_kernel.has_recursion, 0
	.set fused_bias_gelu_kernel.has_indirect_call, 0
	.section	.AMDGPU.csdata,"",@progbits
; Kernel info:
; codeLenInByte = 4440
; TotalNumSgprs: 18
; NumVgprs: 24
; ScratchSize: 0
; MemoryBound: 0
; FloatMode: 240
; IeeeMode: 1
; LDSByteSize: 0 bytes/workgroup (compile time only)
; SGPRBlocks: 0
; VGPRBlocks: 2
; NumSGPRsForWavesPerEU: 18
; NumVGPRsForWavesPerEU: 24
; Occupancy: 16
; WaveLimiterHint : 0
; COMPUTE_PGM_RSRC2:SCRATCH_EN: 0
; COMPUTE_PGM_RSRC2:USER_SGPR: 2
; COMPUTE_PGM_RSRC2:TRAP_HANDLER: 0
; COMPUTE_PGM_RSRC2:TGID_X_EN: 1
; COMPUTE_PGM_RSRC2:TGID_Y_EN: 1
; COMPUTE_PGM_RSRC2:TGID_Z_EN: 1
; COMPUTE_PGM_RSRC2:TIDIG_COMP_CNT: 0
	.text
	.p2alignl 7, 3214868480
	.fill 96, 4, 3214868480
	.section	.AMDGPU.gpr_maximums,"",@progbits
	.set amdgpu.max_num_vgpr, 0
	.set amdgpu.max_num_agpr, 0
	.set amdgpu.max_num_sgpr, 0
	.set amdgpu.max_num_named_barrier, 0
	.text
	.section	.debug_abbrev,"",@progbits
	.byte	1                               ; Abbreviation Code
	.byte	17                              ; DW_TAG_compile_unit
	.byte	0                               ; DW_CHILDREN_no
	.byte	37                              ; DW_AT_producer
	.byte	14                              ; DW_FORM_strp
	.byte	19                              ; DW_AT_language
	.byte	5                               ; DW_FORM_data2
	.byte	3                               ; DW_AT_name
	.byte	14                              ; DW_FORM_strp
	.byte	16                              ; DW_AT_stmt_list
	.byte	23                              ; DW_FORM_sec_offset
	.byte	27                              ; DW_AT_comp_dir
	.byte	14                              ; DW_FORM_strp
	.byte	17                              ; DW_AT_low_pc
	.byte	1                               ; DW_FORM_addr
	.byte	18                              ; DW_AT_high_pc
	.byte	6                               ; DW_FORM_data4
	.byte	0                               ; EOM(1)
	.byte	0                               ; EOM(2)
	;; [unrolled: 1-line block ×3, first 2 shown]
	.section	.debug_info,"",@progbits
.Lcu_begin0:
	.long	.Ldebug_info_end0-.Ldebug_info_start0 ; Length of Unit
.Ldebug_info_start0:
	.short	4                               ; DWARF version number
	.long	.debug_abbrev                   ; Offset Into Abbrev. Section
	.byte	8                               ; Address Size (in bytes)
	.byte	1                               ; Abbrev [1] 0xb:0x1f DW_TAG_compile_unit
	.long	.Linfo_string0                  ; DW_AT_producer
	.short	2                               ; DW_AT_language
	.long	.Linfo_string1                  ; DW_AT_name
	.long	.Lline_table_start0             ; DW_AT_stmt_list
	.long	.Linfo_string2                  ; DW_AT_comp_dir
	.quad	.Lfunc_begin0                   ; DW_AT_low_pc
	.long	.Lfunc_end0-.Lfunc_begin0       ; DW_AT_high_pc
.Ldebug_info_end0:
	.section	.debug_str,"MS",@progbits,1
.Linfo_string0:
	.asciz	"triton"                        ; string offset=0
.Linfo_string1:
	.asciz	"fused_gelu.py"                 ; string offset=7
.Linfo_string2:
	.asciz	"/root/src/amdgpu-assembly/repos/triton-lang__triton-aot" ; string offset=21
	.section	".note.GNU-stack","",@progbits
	.amdgpu_metadata
---
amdhsa.kernels:
  - .args:
      - .address_space:  global
        .offset:         0
        .size:           8
        .value_kind:     global_buffer
      - .address_space:  global
        .offset:         8
        .size:           8
        .value_kind:     global_buffer
      - .address_space:  global
        .offset:         16
        .size:           8
        .value_kind:     global_buffer
      - .offset:         24
        .size:           4
        .value_kind:     by_value
      - .offset:         28
        .size:           4
        .value_kind:     by_value
      - .address_space:  global
        .offset:         32
        .size:           8
        .value_kind:     global_buffer
      - .address_space:  global
        .offset:         40
        .size:           8
        .value_kind:     global_buffer
    .group_segment_fixed_size: 0
    .kernarg_segment_align: 8
    .kernarg_segment_size: 48
    .max_flat_workgroup_size: 256
    .name:           fused_bias_gelu_kernel
    .private_segment_fixed_size: 0
    .sgpr_count:     18
    .sgpr_spill_count: 0
    .symbol:         fused_bias_gelu_kernel.kd
    .uniform_work_group_size: 1
    .uses_dynamic_stack: false
    .vgpr_count:     24
    .vgpr_spill_count: 0
    .wavefront_size: 32
    .workgroup_processor_mode: 1
amdhsa.target:   amdgcn-amd-amdhsa--gfx1201
amdhsa.version:
  - 1
  - 2
...

	.end_amdgpu_metadata
	.section	.debug_line,"",@progbits
.Lline_table_start0:
